;; amdgpu-corpus repo=ggml-org/llama.cpp kind=compiled arch=gfx1100 opt=O3
	.text
	.amdgcn_target "amdgcn-amd-amdhsa--gfx1100"
	.amdhsa_code_object_version 6
	.section	.text._ZL22cross_entropy_loss_f32ILb1EEvPKfS1_Pfii,"axG",@progbits,_ZL22cross_entropy_loss_f32ILb1EEvPKfS1_Pfii,comdat
	.globl	_ZL22cross_entropy_loss_f32ILb1EEvPKfS1_Pfii ; -- Begin function _ZL22cross_entropy_loss_f32ILb1EEvPKfS1_Pfii
	.p2align	8
	.type	_ZL22cross_entropy_loss_f32ILb1EEvPKfS1_Pfii,@function
_ZL22cross_entropy_loss_f32ILb1EEvPKfS1_Pfii: ; @_ZL22cross_entropy_loss_f32ILb1EEvPKfS1_Pfii
; %bb.0:
	s_clause 0x1
	s_load_b64 s[8:9], s[0:1], 0x18
	s_load_b128 s[4:7], s[0:1], 0x8
	v_mov_b32_e32 v5, 0xff800000
	v_lshlrev_b32_e32 v3, 2, v0
	s_mov_b32 s2, s15
	s_mov_b32 s3, 0
	s_waitcnt lgkmcnt(0)
	v_cmp_gt_i32_e32 vcc_lo, s8, v0
	s_ashr_i32 s12, s8, 31
	s_mul_hi_u32 s13, s8, s15
	s_mul_i32 s12, s12, s15
	s_mul_i32 s10, s8, s15
	s_and_saveexec_b32 s14, vcc_lo
	s_cbranch_execz .LBB0_4
; %bb.1:
	s_load_b64 s[0:1], s[0:1], 0x0
	s_add_i32 s11, s13, s12
	v_dual_mov_b32 v5, 0xff800000 :: v_dual_add_nc_u32 v4, 0, v3
	s_lshl_b64 s[16:17], s[10:11], 2
	v_mov_b32_e32 v6, v0
	s_waitcnt lgkmcnt(0)
	s_add_u32 s0, s0, s16
	s_addc_u32 s1, s1, s17
	v_add_co_u32 v1, s0, s0, v3
	s_delay_alu instid0(VALU_DEP_1)
	v_add_co_ci_u32_e64 v2, null, s1, 0, s0
	s_mov_b32 s1, s3
	.p2align	6
.LBB0_2:                                ; =>This Inner Loop Header: Depth=1
	global_load_b32 v7, v[1:2], off
	v_dual_max_f32 v5, v5, v5 :: v_dual_add_nc_u32 v6, 32, v6
	v_add_co_u32 v1, s0, 0x80, v1
	s_delay_alu instid0(VALU_DEP_1) | instskip(NEXT) | instid1(VALU_DEP_3)
	v_add_co_ci_u32_e64 v2, s0, 0, v2, s0
	v_cmp_le_i32_e64 s0, s8, v6
	s_delay_alu instid0(VALU_DEP_1)
	s_or_b32 s1, s0, s1
	s_waitcnt vmcnt(0)
	v_max_f32_e32 v8, v7, v7
	ds_store_b32 v4, v7
	v_add_nc_u32_e32 v4, 0x80, v4
	v_max_f32_e32 v5, v5, v8
	s_and_not1_b32 exec_lo, exec_lo, s1
	s_cbranch_execnz .LBB0_2
; %bb.3:
	s_or_b32 exec_lo, exec_lo, s1
.LBB0_4:
	s_delay_alu instid0(SALU_CYCLE_1) | instskip(SKIP_3) | instid1(VALU_DEP_2)
	s_or_b32 exec_lo, exec_lo, s14
	v_mbcnt_lo_u32_b32 v1, -1, 0
	s_mov_b32 s11, 0
	v_max_f32_e32 v7, v5, v5
	v_xor_b32_e32 v2, 16, v1
	v_xor_b32_e32 v6, 8, v1
	s_delay_alu instid0(VALU_DEP_2) | instskip(NEXT) | instid1(VALU_DEP_1)
	v_cmp_gt_i32_e64 s0, 32, v2
	v_cndmask_b32_e64 v2, v1, v2, s0
	s_delay_alu instid0(VALU_DEP_3) | instskip(NEXT) | instid1(VALU_DEP_2)
	v_cmp_gt_i32_e64 s0, 32, v6
	v_lshlrev_b32_e32 v4, 2, v2
	ds_bpermute_b32 v2, v4, v5
	v_cndmask_b32_e64 v5, v1, v6, s0
	s_waitcnt lgkmcnt(0)
	s_delay_alu instid0(VALU_DEP_1) | instskip(NEXT) | instid1(VALU_DEP_1)
	v_dual_max_f32 v2, v2, v2 :: v_dual_lshlrev_b32 v5, 2, v5
	v_max_f32_e32 v2, v7, v2
	v_xor_b32_e32 v7, 4, v1
	ds_bpermute_b32 v6, v5, v2
	v_cmp_gt_i32_e64 s0, 32, v7
	s_delay_alu instid0(VALU_DEP_1) | instskip(SKIP_2) | instid1(VALU_DEP_2)
	v_cndmask_b32_e64 v7, v1, v7, s0
	s_waitcnt lgkmcnt(0)
	v_max_f32_e32 v8, v6, v6
	v_lshlrev_b32_e32 v6, 2, v7
	s_delay_alu instid0(VALU_DEP_2) | instskip(SKIP_3) | instid1(VALU_DEP_1)
	v_max_f32_e32 v2, v2, v8
	v_xor_b32_e32 v8, 2, v1
	ds_bpermute_b32 v7, v6, v2
	v_cmp_gt_i32_e64 s0, 32, v8
	v_cndmask_b32_e64 v8, v1, v8, s0
	s_waitcnt lgkmcnt(0)
	v_max_f32_e32 v9, v7, v7
	s_delay_alu instid0(VALU_DEP_1) | instskip(SKIP_3) | instid1(VALU_DEP_1)
	v_dual_max_f32 v2, v2, v9 :: v_dual_lshlrev_b32 v7, 2, v8
	v_xor_b32_e32 v9, 1, v1
	ds_bpermute_b32 v8, v7, v2
	v_cmp_gt_i32_e64 s0, 32, v9
	v_cndmask_b32_e64 v1, v1, v9, s0
	s_waitcnt lgkmcnt(0)
	s_delay_alu instid0(VALU_DEP_1) | instskip(NEXT) | instid1(VALU_DEP_1)
	v_dual_max_f32 v9, v8, v8 :: v_dual_lshlrev_b32 v8, 2, v1
	v_max_f32_e32 v1, v2, v9
	ds_bpermute_b32 v2, v8, v1
	s_waitcnt lgkmcnt(0)
	v_max_f32_e32 v2, v2, v2
	s_delay_alu instid0(VALU_DEP_1)
	v_max_f32_e32 v9, v1, v2
	v_mov_b32_e32 v1, 0
	s_and_saveexec_b32 s1, vcc_lo
	s_cbranch_execz .LBB0_8
; %bb.5:
	v_lshl_add_u32 v2, v0, 2, 0
	v_dual_mov_b32 v1, 0 :: v_dual_mov_b32 v10, v0
	s_set_inst_prefetch_distance 0x1
	.p2align	6
.LBB0_6:                                ; =>This Inner Loop Header: Depth=1
	ds_load_b32 v11, v2
	v_add_nc_u32_e32 v2, 0x80, v2
	s_waitcnt lgkmcnt(0)
	v_dual_sub_f32 v11, v11, v9 :: v_dual_add_nc_u32 v10, 32, v10
	s_delay_alu instid0(VALU_DEP_1) | instskip(NEXT) | instid1(VALU_DEP_1)
	v_mul_f32_e32 v12, 0x3fb8aa3b, v11
	v_fma_f32 v13, 0x3fb8aa3b, v11, -v12
	v_rndne_f32_e32 v14, v12
	s_delay_alu instid0(VALU_DEP_1) | instskip(SKIP_1) | instid1(VALU_DEP_2)
	v_dual_sub_f32 v12, v12, v14 :: v_dual_fmac_f32 v13, 0x32a5705f, v11
	v_cmp_ngt_f32_e64 s0, 0xc2ce8ed0, v11
	v_add_f32_e32 v12, v12, v13
	v_cvt_i32_f32_e32 v13, v14
	s_delay_alu instid0(VALU_DEP_2) | instskip(SKIP_2) | instid1(VALU_DEP_1)
	v_exp_f32_e32 v12, v12
	s_waitcnt_depctr 0xfff
	v_ldexp_f32 v12, v12, v13
	v_cndmask_b32_e64 v12, 0, v12, s0
	v_cmp_nlt_f32_e64 s0, 0x42b17218, v11
	s_delay_alu instid0(VALU_DEP_1) | instskip(SKIP_1) | instid1(VALU_DEP_2)
	v_cndmask_b32_e64 v11, 0x7f800000, v12, s0
	v_cmp_le_i32_e64 s0, s8, v10
	v_add_f32_e32 v1, v1, v11
	s_delay_alu instid0(VALU_DEP_2) | instskip(NEXT) | instid1(SALU_CYCLE_1)
	s_or_b32 s11, s0, s11
	s_and_not1_b32 exec_lo, exec_lo, s11
	s_cbranch_execnz .LBB0_6
; %bb.7:
	s_set_inst_prefetch_distance 0x2
	s_or_b32 exec_lo, exec_lo, s11
.LBB0_8:
	s_delay_alu instid0(SALU_CYCLE_1)
	s_or_b32 exec_lo, exec_lo, s1
	ds_bpermute_b32 v2, v4, v1
	s_waitcnt lgkmcnt(0)
	v_dual_mov_b32 v10, 0 :: v_dual_add_f32 v1, v1, v2
	ds_bpermute_b32 v2, v5, v1
	s_waitcnt lgkmcnt(0)
	v_add_f32_e32 v1, v1, v2
	ds_bpermute_b32 v2, v6, v1
	s_waitcnt lgkmcnt(0)
	v_add_f32_e32 v1, v1, v2
	;; [unrolled: 3-line block ×3, first 2 shown]
	ds_bpermute_b32 v2, v8, v1
	s_and_saveexec_b32 s1, vcc_lo
	s_cbranch_execz .LBB0_12
; %bb.9:
	s_waitcnt lgkmcnt(0)
	v_add_f32_e32 v1, v1, v2
	s_add_i32 s11, s13, s12
	v_add_nc_u32_e32 v11, 0, v3
	s_lshl_b64 s[10:11], s[10:11], 2
	s_delay_alu instid0(VALU_DEP_2) | instskip(SKIP_3) | instid1(VALU_DEP_1)
	v_cmp_gt_f32_e32 vcc_lo, 0x800000, v1
	s_add_u32 s0, s4, s10
	s_addc_u32 s4, s5, s11
	v_cndmask_b32_e64 v2, 1.0, 0x4f800000, vcc_lo
	v_mul_f32_e32 v1, v1, v2
	s_delay_alu instid0(VALU_DEP_1) | instskip(SKIP_2) | instid1(VALU_DEP_1)
	v_log_f32_e32 v1, v1
	s_waitcnt_depctr 0xfff
	v_mul_f32_e32 v2, 0x3f317217, v1
	v_fma_f32 v10, 0x3f317217, v1, -v2
	s_delay_alu instid0(VALU_DEP_1) | instskip(SKIP_1) | instid1(VALU_DEP_2)
	v_fmamk_f32 v12, v1, 0x3377d1cf, v10
	v_mov_b32_e32 v10, 0
	v_add_f32_e32 v2, v2, v12
	v_cndmask_b32_e64 v12, 0, 0x41b17218, vcc_lo
	v_cmp_gt_f32_e64 vcc_lo, 0x7f800000, |v1|
	s_delay_alu instid0(VALU_DEP_3) | instskip(SKIP_1) | instid1(VALU_DEP_1)
	v_cndmask_b32_e32 v13, v1, v2, vcc_lo
	v_add_co_u32 v1, s0, s0, v3
	v_add_co_ci_u32_e64 v2, null, s4, 0, s0
	s_delay_alu instid0(VALU_DEP_3)
	v_dual_sub_f32 v3, v13, v12 :: v_dual_mov_b32 v12, v0
	s_mov_b32 s4, 0
	.p2align	6
.LBB0_10:                               ; =>This Inner Loop Header: Depth=1
	global_load_b32 v13, v[1:2], off
	ds_load_b32 v14, v11
	v_add_nc_u32_e32 v12, 32, v12
	v_add_co_u32 v1, vcc_lo, 0x80, v1
	v_add_co_ci_u32_e32 v2, vcc_lo, 0, v2, vcc_lo
	s_delay_alu instid0(VALU_DEP_3) | instskip(SKIP_1) | instid1(VALU_DEP_2)
	v_cmp_le_i32_e64 s0, s8, v12
	v_add_nc_u32_e32 v11, 0x80, v11
	s_or_b32 s4, s0, s4
	s_waitcnt lgkmcnt(0)
	v_sub_f32_e32 v14, v14, v9
	s_delay_alu instid0(VALU_DEP_1) | instskip(SKIP_1) | instid1(VALU_DEP_1)
	v_sub_f32_e32 v14, v14, v3
	s_waitcnt vmcnt(0)
	v_fmac_f32_e32 v10, v13, v14
	s_and_not1_b32 exec_lo, exec_lo, s4
	s_cbranch_execnz .LBB0_10
; %bb.11:
	s_or_b32 exec_lo, exec_lo, s4
.LBB0_12:
	s_delay_alu instid0(SALU_CYCLE_1)
	s_or_b32 exec_lo, exec_lo, s1
	ds_bpermute_b32 v1, v4, v10
	s_mov_b32 s0, exec_lo
	s_waitcnt lgkmcnt(0)
	v_add_f32_e32 v1, v10, v1
	ds_bpermute_b32 v2, v5, v1
	s_waitcnt lgkmcnt(0)
	v_add_f32_e32 v1, v1, v2
	ds_bpermute_b32 v2, v6, v1
	;; [unrolled: 3-line block ×4, first 2 shown]
	v_cmpx_eq_u32_e32 0, v0
	s_cbranch_execz .LBB0_14
; %bb.13:
	s_waitcnt lgkmcnt(0)
	v_add_f32_e32 v0, v1, v2
	v_cvt_f32_i32_e32 v1, s9
	s_lshl_b64 s[0:1], s[2:3], 2
	s_delay_alu instid0(SALU_CYCLE_1) | instskip(SKIP_1) | instid1(VALU_DEP_1)
	s_add_u32 s0, s6, s0
	s_addc_u32 s1, s7, s1
	v_div_scale_f32 v2, null, v1, v1, -v0
	s_delay_alu instid0(VALU_DEP_1) | instskip(SKIP_2) | instid1(VALU_DEP_1)
	v_rcp_f32_e32 v3, v2
	s_waitcnt_depctr 0xfff
	v_fma_f32 v4, -v2, v3, 1.0
	v_fmac_f32_e32 v3, v4, v3
	v_div_scale_f32 v5, vcc_lo, -v0, v1, -v0
	s_delay_alu instid0(VALU_DEP_1) | instskip(NEXT) | instid1(VALU_DEP_1)
	v_mul_f32_e32 v4, v5, v3
	v_fma_f32 v6, -v2, v4, v5
	s_delay_alu instid0(VALU_DEP_1) | instskip(NEXT) | instid1(VALU_DEP_1)
	v_fmac_f32_e32 v4, v6, v3
	v_fma_f32 v2, -v2, v4, v5
	s_delay_alu instid0(VALU_DEP_1) | instskip(NEXT) | instid1(VALU_DEP_1)
	v_div_fmas_f32 v2, v2, v3, v4
	v_div_fixup_f32 v0, v2, v1, -v0
	v_mov_b32_e32 v1, 0
	global_store_b32 v1, v0, s[0:1]
.LBB0_14:
	s_nop 0
	s_sendmsg sendmsg(MSG_DEALLOC_VGPRS)
	s_endpgm
	.section	.rodata,"a",@progbits
	.p2align	6, 0x0
	.amdhsa_kernel _ZL22cross_entropy_loss_f32ILb1EEvPKfS1_Pfii
		.amdhsa_group_segment_fixed_size 0
		.amdhsa_private_segment_fixed_size 0
		.amdhsa_kernarg_size 32
		.amdhsa_user_sgpr_count 15
		.amdhsa_user_sgpr_dispatch_ptr 0
		.amdhsa_user_sgpr_queue_ptr 0
		.amdhsa_user_sgpr_kernarg_segment_ptr 1
		.amdhsa_user_sgpr_dispatch_id 0
		.amdhsa_user_sgpr_private_segment_size 0
		.amdhsa_wavefront_size32 1
		.amdhsa_uses_dynamic_stack 0
		.amdhsa_enable_private_segment 0
		.amdhsa_system_sgpr_workgroup_id_x 1
		.amdhsa_system_sgpr_workgroup_id_y 0
		.amdhsa_system_sgpr_workgroup_id_z 0
		.amdhsa_system_sgpr_workgroup_info 0
		.amdhsa_system_vgpr_workitem_id 0
		.amdhsa_next_free_vgpr 15
		.amdhsa_next_free_sgpr 18
		.amdhsa_reserve_vcc 1
		.amdhsa_float_round_mode_32 0
		.amdhsa_float_round_mode_16_64 0
		.amdhsa_float_denorm_mode_32 3
		.amdhsa_float_denorm_mode_16_64 3
		.amdhsa_dx10_clamp 1
		.amdhsa_ieee_mode 1
		.amdhsa_fp16_overflow 0
		.amdhsa_workgroup_processor_mode 1
		.amdhsa_memory_ordered 1
		.amdhsa_forward_progress 0
		.amdhsa_shared_vgpr_count 0
		.amdhsa_exception_fp_ieee_invalid_op 0
		.amdhsa_exception_fp_denorm_src 0
		.amdhsa_exception_fp_ieee_div_zero 0
		.amdhsa_exception_fp_ieee_overflow 0
		.amdhsa_exception_fp_ieee_underflow 0
		.amdhsa_exception_fp_ieee_inexact 0
		.amdhsa_exception_int_div_zero 0
	.end_amdhsa_kernel
	.section	.text._ZL22cross_entropy_loss_f32ILb1EEvPKfS1_Pfii,"axG",@progbits,_ZL22cross_entropy_loss_f32ILb1EEvPKfS1_Pfii,comdat
.Lfunc_end0:
	.size	_ZL22cross_entropy_loss_f32ILb1EEvPKfS1_Pfii, .Lfunc_end0-_ZL22cross_entropy_loss_f32ILb1EEvPKfS1_Pfii
                                        ; -- End function
	.section	.AMDGPU.csdata,"",@progbits
; Kernel info:
; codeLenInByte = 1324
; NumSgprs: 20
; NumVgprs: 15
; ScratchSize: 0
; MemoryBound: 0
; FloatMode: 240
; IeeeMode: 1
; LDSByteSize: 0 bytes/workgroup (compile time only)
; SGPRBlocks: 2
; VGPRBlocks: 1
; NumSGPRsForWavesPerEU: 20
; NumVGPRsForWavesPerEU: 15
; Occupancy: 16
; WaveLimiterHint : 0
; COMPUTE_PGM_RSRC2:SCRATCH_EN: 0
; COMPUTE_PGM_RSRC2:USER_SGPR: 15
; COMPUTE_PGM_RSRC2:TRAP_HANDLER: 0
; COMPUTE_PGM_RSRC2:TGID_X_EN: 1
; COMPUTE_PGM_RSRC2:TGID_Y_EN: 0
; COMPUTE_PGM_RSRC2:TGID_Z_EN: 0
; COMPUTE_PGM_RSRC2:TIDIG_COMP_CNT: 0
	.section	.text._ZL22cross_entropy_loss_f32ILb0EEvPKfS1_Pfii,"axG",@progbits,_ZL22cross_entropy_loss_f32ILb0EEvPKfS1_Pfii,comdat
	.globl	_ZL22cross_entropy_loss_f32ILb0EEvPKfS1_Pfii ; -- Begin function _ZL22cross_entropy_loss_f32ILb0EEvPKfS1_Pfii
	.p2align	8
	.type	_ZL22cross_entropy_loss_f32ILb0EEvPKfS1_Pfii,@function
_ZL22cross_entropy_loss_f32ILb0EEvPKfS1_Pfii: ; @_ZL22cross_entropy_loss_f32ILb0EEvPKfS1_Pfii
; %bb.0:
	s_load_b256 s[4:11], s[0:1], 0x0
	v_dual_mov_b32 v4, 0xff800000 :: v_dual_lshlrev_b32 v3, 2, v0
	s_mov_b32 s2, s15
	s_mov_b32 s3, 0
	s_waitcnt lgkmcnt(0)
	v_cmp_gt_i32_e32 vcc_lo, s10, v0
	s_ashr_i32 s14, s10, 31
	s_mul_i32 s12, s10, s2
	s_mul_i32 s14, s14, s15
	s_mul_hi_u32 s15, s10, s15
	s_and_saveexec_b32 s16, vcc_lo
	s_cbranch_execz .LBB1_4
; %bb.1:
	s_add_i32 s13, s15, s14
	v_dual_mov_b32 v4, 0xff800000 :: v_dual_mov_b32 v5, v0
	s_lshl_b64 s[0:1], s[12:13], 2
	s_mov_b32 s13, s3
	s_add_u32 s0, s4, s0
	s_addc_u32 s1, s5, s1
	v_add_co_u32 v1, s0, s0, v3
	s_delay_alu instid0(VALU_DEP_1)
	v_add_co_ci_u32_e64 v2, null, s1, 0, s0
.LBB1_2:                                ; =>This Inner Loop Header: Depth=1
	global_load_b32 v6, v[1:2], off
	v_dual_max_f32 v4, v4, v4 :: v_dual_add_nc_u32 v5, 32, v5
	v_add_co_u32 v1, s0, 0x80, v1
	s_delay_alu instid0(VALU_DEP_1) | instskip(NEXT) | instid1(VALU_DEP_3)
	v_add_co_ci_u32_e64 v2, s0, 0, v2, s0
	v_cmp_le_i32_e64 s1, s10, v5
	s_delay_alu instid0(VALU_DEP_1) | instskip(SKIP_2) | instid1(VALU_DEP_1)
	s_or_b32 s13, s1, s13
	s_waitcnt vmcnt(0)
	v_max_f32_e32 v6, v6, v6
	v_max_f32_e32 v4, v4, v6
	s_and_not1_b32 exec_lo, exec_lo, s13
	s_cbranch_execnz .LBB1_2
; %bb.3:
	s_or_b32 exec_lo, exec_lo, s13
.LBB1_4:
	s_delay_alu instid0(SALU_CYCLE_1) | instskip(SKIP_2) | instid1(VALU_DEP_1)
	s_or_b32 exec_lo, exec_lo, s16
	v_mbcnt_lo_u32_b32 v1, -1, 0
	s_mov_b32 s17, 0
	v_xor_b32_e32 v2, 16, v1
	v_xor_b32_e32 v6, 8, v1
	v_xor_b32_e32 v7, 4, v1
	v_xor_b32_e32 v8, 2, v1
	v_xor_b32_e32 v9, 1, v1
	v_cmp_gt_i32_e64 s0, 32, v2
	s_delay_alu instid0(VALU_DEP_1) | instskip(SKIP_1) | instid1(VALU_DEP_2)
	v_cndmask_b32_e64 v2, v1, v2, s0
	v_cmp_gt_i32_e64 s0, 32, v6
	v_lshlrev_b32_e32 v5, 2, v2
	s_delay_alu instid0(VALU_DEP_2)
	v_cndmask_b32_e64 v6, v1, v6, s0
	v_cmp_gt_i32_e64 s0, 32, v7
	ds_bpermute_b32 v2, v5, v4
	v_max_f32_e32 v4, v4, v4
	v_cndmask_b32_e64 v7, v1, v7, s0
	v_cmp_gt_i32_e64 s0, 32, v8
	v_lshlrev_b32_e32 v6, 2, v6
	s_delay_alu instid0(VALU_DEP_3) | instskip(NEXT) | instid1(VALU_DEP_3)
	v_lshlrev_b32_e32 v7, 2, v7
	v_cndmask_b32_e64 v8, v1, v8, s0
	v_cmp_gt_i32_e64 s0, 32, v9
	s_delay_alu instid0(VALU_DEP_2) | instskip(NEXT) | instid1(VALU_DEP_2)
	v_lshlrev_b32_e32 v8, 2, v8
	v_cndmask_b32_e64 v1, v1, v9, s0
	s_waitcnt lgkmcnt(0)
	s_delay_alu instid0(VALU_DEP_1) | instskip(NEXT) | instid1(VALU_DEP_1)
	v_dual_max_f32 v2, v2, v2 :: v_dual_lshlrev_b32 v9, 2, v1
	v_max_f32_e32 v2, v4, v2
	ds_bpermute_b32 v4, v6, v2
	s_waitcnt lgkmcnt(0)
	v_max_f32_e32 v4, v4, v4
	s_delay_alu instid0(VALU_DEP_1) | instskip(SKIP_3) | instid1(VALU_DEP_1)
	v_max_f32_e32 v2, v2, v4
	ds_bpermute_b32 v4, v7, v2
	s_waitcnt lgkmcnt(0)
	v_max_f32_e32 v4, v4, v4
	v_max_f32_e32 v2, v2, v4
	ds_bpermute_b32 v4, v8, v2
	s_waitcnt lgkmcnt(0)
	v_max_f32_e32 v4, v4, v4
	s_delay_alu instid0(VALU_DEP_1) | instskip(SKIP_3) | instid1(VALU_DEP_1)
	v_dual_max_f32 v1, v2, v4 :: v_dual_mov_b32 v4, 0
	ds_bpermute_b32 v2, v9, v1
	s_waitcnt lgkmcnt(0)
	v_max_f32_e32 v2, v2, v2
	v_max_f32_e32 v10, v1, v2
	s_and_saveexec_b32 s16, vcc_lo
	s_cbranch_execz .LBB1_8
; %bb.5:
	s_add_i32 s13, s15, s14
	v_dual_mov_b32 v4, 0 :: v_dual_mov_b32 v11, v0
	s_lshl_b64 s[0:1], s[12:13], 2
	s_delay_alu instid0(SALU_CYCLE_1) | instskip(SKIP_2) | instid1(VALU_DEP_1)
	s_add_u32 s0, s4, s0
	s_addc_u32 s1, s5, s1
	v_add_co_u32 v1, s0, s0, v3
	v_add_co_ci_u32_e64 v2, null, s1, 0, s0
	s_set_inst_prefetch_distance 0x1
	.p2align	6
.LBB1_6:                                ; =>This Inner Loop Header: Depth=1
	global_load_b32 v12, v[1:2], off
	v_add_nc_u32_e32 v11, 32, v11
	s_delay_alu instid0(VALU_DEP_1) | instskip(NEXT) | instid1(VALU_DEP_1)
	v_cmp_le_i32_e64 s1, s10, v11
	s_or_b32 s17, s1, s17
	s_waitcnt vmcnt(0)
	v_sub_f32_e32 v12, v12, v10
	s_delay_alu instid0(VALU_DEP_1) | instskip(NEXT) | instid1(VALU_DEP_1)
	v_mul_f32_e32 v13, 0x3fb8aa3b, v12
	v_fma_f32 v14, 0x3fb8aa3b, v12, -v13
	v_rndne_f32_e32 v15, v13
	s_delay_alu instid0(VALU_DEP_1) | instskip(SKIP_1) | instid1(VALU_DEP_2)
	v_dual_sub_f32 v13, v13, v15 :: v_dual_fmac_f32 v14, 0x32a5705f, v12
	v_cmp_ngt_f32_e64 s0, 0xc2ce8ed0, v12
	v_add_f32_e32 v13, v13, v14
	v_cvt_i32_f32_e32 v14, v15
	s_delay_alu instid0(VALU_DEP_2) | instskip(SKIP_2) | instid1(VALU_DEP_1)
	v_exp_f32_e32 v13, v13
	s_waitcnt_depctr 0xfff
	v_ldexp_f32 v13, v13, v14
	v_cndmask_b32_e64 v13, 0, v13, s0
	v_cmp_nlt_f32_e64 s0, 0x42b17218, v12
	s_delay_alu instid0(VALU_DEP_1) | instskip(SKIP_1) | instid1(VALU_DEP_1)
	v_cndmask_b32_e64 v12, 0x7f800000, v13, s0
	v_add_co_u32 v1, s0, 0x80, v1
	v_add_co_ci_u32_e64 v2, s0, 0, v2, s0
	s_delay_alu instid0(VALU_DEP_3)
	v_add_f32_e32 v4, v4, v12
	s_and_not1_b32 exec_lo, exec_lo, s17
	s_cbranch_execnz .LBB1_6
; %bb.7:
	s_set_inst_prefetch_distance 0x2
	s_or_b32 exec_lo, exec_lo, s17
.LBB1_8:
	s_delay_alu instid0(SALU_CYCLE_1)
	s_or_b32 exec_lo, exec_lo, s16
	ds_bpermute_b32 v1, v5, v4
	v_mov_b32_e32 v11, 0
	s_waitcnt lgkmcnt(0)
	v_add_f32_e32 v1, v4, v1
	ds_bpermute_b32 v2, v6, v1
	s_waitcnt lgkmcnt(0)
	v_add_f32_e32 v1, v1, v2
	ds_bpermute_b32 v2, v7, v1
	;; [unrolled: 3-line block ×4, first 2 shown]
	s_and_saveexec_b32 s1, vcc_lo
	s_cbranch_execz .LBB1_12
; %bb.9:
	s_waitcnt lgkmcnt(0)
	v_add_f32_e32 v1, v1, v2
	s_add_i32 s13, s15, s14
	v_mov_b32_e32 v11, 0
	s_lshl_b64 s[12:13], s[12:13], 2
	s_delay_alu instid0(SALU_CYCLE_1) | instskip(SKIP_4) | instid1(VALU_DEP_2)
	v_add_co_u32 v3, s0, s12, v3
	v_cmp_gt_f32_e32 vcc_lo, 0x800000, v1
	v_add_co_ci_u32_e64 v12, null, s13, 0, s0
	v_cndmask_b32_e64 v2, 1.0, 0x4f800000, vcc_lo
	v_cndmask_b32_e64 v14, 0, 0x41b17218, vcc_lo
	v_mul_f32_e32 v1, v1, v2
	s_delay_alu instid0(VALU_DEP_1) | instskip(SKIP_3) | instid1(VALU_DEP_2)
	v_log_f32_e32 v4, v1
	s_waitcnt_depctr 0xfff
	v_mul_f32_e32 v1, 0x3f317217, v4
	v_cmp_gt_f32_e64 vcc_lo, 0x7f800000, |v4|
	v_fma_f32 v2, 0x3f317217, v4, -v1
	s_delay_alu instid0(VALU_DEP_1) | instskip(NEXT) | instid1(VALU_DEP_1)
	v_fmamk_f32 v2, v4, 0x3377d1cf, v2
	v_add_f32_e32 v13, v1, v2
	v_add_co_u32 v1, s0, s4, v3
	s_delay_alu instid0(VALU_DEP_1) | instskip(NEXT) | instid1(VALU_DEP_3)
	v_add_co_ci_u32_e64 v2, s0, s5, v12, s0
	v_cndmask_b32_e32 v13, v4, v13, vcc_lo
	v_add_co_u32 v3, vcc_lo, s6, v3
	v_add_co_ci_u32_e32 v4, vcc_lo, s7, v12, vcc_lo
	s_delay_alu instid0(VALU_DEP_3)
	v_dual_sub_f32 v12, v13, v14 :: v_dual_mov_b32 v13, v0
	s_mov_b32 s4, 0
	.p2align	6
.LBB1_10:                               ; =>This Inner Loop Header: Depth=1
	global_load_b32 v14, v[1:2], off
	global_load_b32 v15, v[3:4], off
	v_add_nc_u32_e32 v13, 32, v13
	v_add_co_u32 v1, vcc_lo, 0x80, v1
	v_add_co_ci_u32_e32 v2, vcc_lo, 0, v2, vcc_lo
	v_add_co_u32 v3, vcc_lo, 0x80, v3
	v_add_co_ci_u32_e32 v4, vcc_lo, 0, v4, vcc_lo
	s_waitcnt vmcnt(1)
	v_sub_f32_e32 v14, v14, v10
	v_cmp_le_i32_e64 s0, s10, v13
	s_delay_alu instid0(VALU_DEP_2) | instskip(NEXT) | instid1(VALU_DEP_2)
	v_sub_f32_e32 v14, v14, v12
	s_or_b32 s4, s0, s4
	s_waitcnt vmcnt(0)
	s_delay_alu instid0(VALU_DEP_1)
	v_fmac_f32_e32 v11, v15, v14
	s_and_not1_b32 exec_lo, exec_lo, s4
	s_cbranch_execnz .LBB1_10
; %bb.11:
	s_or_b32 exec_lo, exec_lo, s4
.LBB1_12:
	s_delay_alu instid0(SALU_CYCLE_1)
	s_or_b32 exec_lo, exec_lo, s1
	ds_bpermute_b32 v1, v5, v11
	s_mov_b32 s0, exec_lo
	s_waitcnt lgkmcnt(0)
	v_add_f32_e32 v1, v11, v1
	ds_bpermute_b32 v2, v6, v1
	s_waitcnt lgkmcnt(0)
	v_add_f32_e32 v1, v1, v2
	ds_bpermute_b32 v2, v7, v1
	;; [unrolled: 3-line block ×4, first 2 shown]
	v_cmpx_eq_u32_e32 0, v0
	s_cbranch_execz .LBB1_14
; %bb.13:
	s_waitcnt lgkmcnt(0)
	v_add_f32_e32 v0, v1, v2
	v_cvt_f32_i32_e32 v1, s11
	s_lshl_b64 s[0:1], s[2:3], 2
	s_delay_alu instid0(SALU_CYCLE_1) | instskip(SKIP_1) | instid1(VALU_DEP_1)
	s_add_u32 s0, s8, s0
	s_addc_u32 s1, s9, s1
	v_div_scale_f32 v2, null, v1, v1, -v0
	s_delay_alu instid0(VALU_DEP_1) | instskip(SKIP_2) | instid1(VALU_DEP_1)
	v_rcp_f32_e32 v3, v2
	s_waitcnt_depctr 0xfff
	v_fma_f32 v4, -v2, v3, 1.0
	v_fmac_f32_e32 v3, v4, v3
	v_div_scale_f32 v5, vcc_lo, -v0, v1, -v0
	s_delay_alu instid0(VALU_DEP_1) | instskip(NEXT) | instid1(VALU_DEP_1)
	v_mul_f32_e32 v4, v5, v3
	v_fma_f32 v6, -v2, v4, v5
	s_delay_alu instid0(VALU_DEP_1) | instskip(NEXT) | instid1(VALU_DEP_1)
	v_fmac_f32_e32 v4, v6, v3
	v_fma_f32 v2, -v2, v4, v5
	s_delay_alu instid0(VALU_DEP_1) | instskip(NEXT) | instid1(VALU_DEP_1)
	v_div_fmas_f32 v2, v2, v3, v4
	v_div_fixup_f32 v0, v2, v1, -v0
	v_mov_b32_e32 v1, 0
	global_store_b32 v1, v0, s[0:1]
.LBB1_14:
	s_nop 0
	s_sendmsg sendmsg(MSG_DEALLOC_VGPRS)
	s_endpgm
	.section	.rodata,"a",@progbits
	.p2align	6, 0x0
	.amdhsa_kernel _ZL22cross_entropy_loss_f32ILb0EEvPKfS1_Pfii
		.amdhsa_group_segment_fixed_size 0
		.amdhsa_private_segment_fixed_size 0
		.amdhsa_kernarg_size 32
		.amdhsa_user_sgpr_count 15
		.amdhsa_user_sgpr_dispatch_ptr 0
		.amdhsa_user_sgpr_queue_ptr 0
		.amdhsa_user_sgpr_kernarg_segment_ptr 1
		.amdhsa_user_sgpr_dispatch_id 0
		.amdhsa_user_sgpr_private_segment_size 0
		.amdhsa_wavefront_size32 1
		.amdhsa_uses_dynamic_stack 0
		.amdhsa_enable_private_segment 0
		.amdhsa_system_sgpr_workgroup_id_x 1
		.amdhsa_system_sgpr_workgroup_id_y 0
		.amdhsa_system_sgpr_workgroup_id_z 0
		.amdhsa_system_sgpr_workgroup_info 0
		.amdhsa_system_vgpr_workitem_id 0
		.amdhsa_next_free_vgpr 16
		.amdhsa_next_free_sgpr 18
		.amdhsa_reserve_vcc 1
		.amdhsa_float_round_mode_32 0
		.amdhsa_float_round_mode_16_64 0
		.amdhsa_float_denorm_mode_32 3
		.amdhsa_float_denorm_mode_16_64 3
		.amdhsa_dx10_clamp 1
		.amdhsa_ieee_mode 1
		.amdhsa_fp16_overflow 0
		.amdhsa_workgroup_processor_mode 1
		.amdhsa_memory_ordered 1
		.amdhsa_forward_progress 0
		.amdhsa_shared_vgpr_count 0
		.amdhsa_exception_fp_ieee_invalid_op 0
		.amdhsa_exception_fp_denorm_src 0
		.amdhsa_exception_fp_ieee_div_zero 0
		.amdhsa_exception_fp_ieee_overflow 0
		.amdhsa_exception_fp_ieee_underflow 0
		.amdhsa_exception_fp_ieee_inexact 0
		.amdhsa_exception_int_div_zero 0
	.end_amdhsa_kernel
	.section	.text._ZL22cross_entropy_loss_f32ILb0EEvPKfS1_Pfii,"axG",@progbits,_ZL22cross_entropy_loss_f32ILb0EEvPKfS1_Pfii,comdat
.Lfunc_end1:
	.size	_ZL22cross_entropy_loss_f32ILb0EEvPKfS1_Pfii, .Lfunc_end1-_ZL22cross_entropy_loss_f32ILb0EEvPKfS1_Pfii
                                        ; -- End function
	.section	.AMDGPU.csdata,"",@progbits
; Kernel info:
; codeLenInByte = 1344
; NumSgprs: 20
; NumVgprs: 16
; ScratchSize: 0
; MemoryBound: 0
; FloatMode: 240
; IeeeMode: 1
; LDSByteSize: 0 bytes/workgroup (compile time only)
; SGPRBlocks: 2
; VGPRBlocks: 1
; NumSGPRsForWavesPerEU: 20
; NumVGPRsForWavesPerEU: 16
; Occupancy: 16
; WaveLimiterHint : 0
; COMPUTE_PGM_RSRC2:SCRATCH_EN: 0
; COMPUTE_PGM_RSRC2:USER_SGPR: 15
; COMPUTE_PGM_RSRC2:TRAP_HANDLER: 0
; COMPUTE_PGM_RSRC2:TGID_X_EN: 1
; COMPUTE_PGM_RSRC2:TGID_Y_EN: 0
; COMPUTE_PGM_RSRC2:TGID_Z_EN: 0
; COMPUTE_PGM_RSRC2:TIDIG_COMP_CNT: 0
	.section	.text._ZL27cross_entropy_loss_back_f32ILb1EEvPKfS1_S1_Pfi,"axG",@progbits,_ZL27cross_entropy_loss_back_f32ILb1EEvPKfS1_S1_Pfi,comdat
	.globl	_ZL27cross_entropy_loss_back_f32ILb1EEvPKfS1_S1_Pfi ; -- Begin function _ZL27cross_entropy_loss_back_f32ILb1EEvPKfS1_S1_Pfi
	.p2align	8
	.type	_ZL27cross_entropy_loss_back_f32ILb1EEvPKfS1_S1_Pfi,@function
_ZL27cross_entropy_loss_back_f32ILb1EEvPKfS1_S1_Pfi: ; @_ZL27cross_entropy_loss_back_f32ILb1EEvPKfS1_S1_Pfi
; %bb.0:
	s_clause 0x2
	s_load_b32 s3, s[0:1], 0x20
	s_load_b64 s[10:11], s[0:1], 0x0
	s_load_b128 s[4:7], s[0:1], 0x10
	v_mov_b32_e32 v3, 0xff800000
	v_lshlrev_b32_e32 v5, 2, v0
	s_mov_b32 s14, 0
	s_waitcnt lgkmcnt(0)
	v_cmp_gt_i32_e32 vcc_lo, s3, v0
	s_ashr_i32 s2, s3, 31
	s_mul_hi_u32 s13, s3, s15
	s_mul_i32 s12, s2, s15
	s_mul_i32 s8, s3, s15
	s_and_saveexec_b32 s15, vcc_lo
	s_cbranch_execz .LBB2_4
; %bb.1:
	s_load_b64 s[16:17], s[0:1], 0x8
	s_add_i32 s9, s13, s12
	v_dual_mov_b32 v3, 0xff800000 :: v_dual_add_nc_u32 v4, 0, v5
	s_lshl_b64 s[18:19], s[8:9], 2
	v_mov_b32_e32 v6, v0
	s_waitcnt lgkmcnt(0)
	s_add_u32 s2, s16, s18
	s_addc_u32 s9, s17, s19
	v_add_co_u32 v1, s2, s2, v5
	s_delay_alu instid0(VALU_DEP_1)
	v_add_co_ci_u32_e64 v2, null, s9, 0, s2
	.p2align	6
.LBB2_2:                                ; =>This Inner Loop Header: Depth=1
	global_load_b32 v7, v[1:2], off
	v_dual_max_f32 v3, v3, v3 :: v_dual_add_nc_u32 v6, 32, v6
	v_add_co_u32 v1, s2, 0x80, v1
	s_delay_alu instid0(VALU_DEP_1) | instskip(NEXT) | instid1(VALU_DEP_3)
	v_add_co_ci_u32_e64 v2, s2, 0, v2, s2
	v_cmp_le_i32_e64 s2, s3, v6
	s_delay_alu instid0(VALU_DEP_1)
	s_or_b32 s14, s2, s14
	s_waitcnt vmcnt(0)
	v_max_f32_e32 v8, v7, v7
	ds_store_b32 v4, v7
	v_add_nc_u32_e32 v4, 0x80, v4
	v_max_f32_e32 v3, v3, v8
	s_and_not1_b32 exec_lo, exec_lo, s14
	s_cbranch_execnz .LBB2_2
; %bb.3:
	s_or_b32 exec_lo, exec_lo, s14
.LBB2_4:
	s_delay_alu instid0(SALU_CYCLE_1) | instskip(SKIP_2) | instid1(VALU_DEP_1)
	s_or_b32 exec_lo, exec_lo, s15
	v_mbcnt_lo_u32_b32 v6, -1, 0
	s_mov_b32 s14, 0
	v_xor_b32_e32 v1, 16, v6
	v_xor_b32_e32 v4, 8, v6
	s_delay_alu instid0(VALU_DEP_2) | instskip(NEXT) | instid1(VALU_DEP_1)
	v_cmp_gt_i32_e64 s2, 32, v1
	v_cndmask_b32_e64 v1, v6, v1, s2
	s_delay_alu instid0(VALU_DEP_3) | instskip(NEXT) | instid1(VALU_DEP_2)
	v_cmp_gt_i32_e64 s2, 32, v4
	v_lshlrev_b32_e32 v1, 2, v1
	s_delay_alu instid0(VALU_DEP_2) | instskip(SKIP_4) | instid1(VALU_DEP_1)
	v_cndmask_b32_e64 v4, v6, v4, s2
	ds_bpermute_b32 v2, v1, v3
	v_max_f32_e32 v3, v3, v3
	s_waitcnt lgkmcnt(0)
	v_dual_max_f32 v7, v2, v2 :: v_dual_lshlrev_b32 v2, 2, v4
	v_max_f32_e32 v4, v3, v7
	v_xor_b32_e32 v7, 4, v6
	ds_bpermute_b32 v3, v2, v4
	v_cmp_gt_i32_e64 s2, 32, v7
	s_delay_alu instid0(VALU_DEP_1) | instskip(SKIP_2) | instid1(VALU_DEP_2)
	v_cndmask_b32_e64 v7, v6, v7, s2
	s_waitcnt lgkmcnt(0)
	v_max_f32_e32 v8, v3, v3
	v_lshlrev_b32_e32 v3, 2, v7
	s_delay_alu instid0(VALU_DEP_2) | instskip(SKIP_3) | instid1(VALU_DEP_1)
	v_max_f32_e32 v7, v4, v8
	v_xor_b32_e32 v8, 2, v6
	ds_bpermute_b32 v4, v3, v7
	v_cmp_gt_i32_e64 s2, 32, v8
	v_cndmask_b32_e64 v8, v6, v8, s2
	s_waitcnt lgkmcnt(0)
	v_max_f32_e32 v9, v4, v4
	s_delay_alu instid0(VALU_DEP_1) | instskip(SKIP_3) | instid1(VALU_DEP_1)
	v_dual_max_f32 v7, v7, v9 :: v_dual_lshlrev_b32 v4, 2, v8
	v_xor_b32_e32 v9, 1, v6
	ds_bpermute_b32 v8, v4, v7
	v_cmp_gt_i32_e64 s2, 32, v9
	v_cndmask_b32_e64 v6, v6, v9, s2
	s_delay_alu instid0(VALU_DEP_1) | instskip(SKIP_2) | instid1(VALU_DEP_1)
	v_lshlrev_b32_e32 v6, 2, v6
	s_waitcnt lgkmcnt(0)
	v_max_f32_e32 v8, v8, v8
	v_dual_max_f32 v8, v7, v8 :: v_dual_mov_b32 v7, 0
	ds_bpermute_b32 v9, v6, v8
	s_and_saveexec_b32 s9, vcc_lo
	s_cbranch_execz .LBB2_8
; %bb.5:
	s_waitcnt lgkmcnt(0)
	v_dual_max_f32 v9, v9, v9 :: v_dual_max_f32 v10, v8, v8
	v_lshl_add_u32 v8, v0, 2, 0
	v_mov_b32_e32 v7, 0
	s_delay_alu instid0(VALU_DEP_3)
	v_dual_max_f32 v9, v10, v9 :: v_dual_mov_b32 v10, v0
	s_set_inst_prefetch_distance 0x1
	.p2align	6
.LBB2_6:                                ; =>This Inner Loop Header: Depth=1
	ds_load_b32 v11, v8
	s_waitcnt lgkmcnt(0)
	v_dual_sub_f32 v11, v11, v9 :: v_dual_add_nc_u32 v10, 32, v10
	s_delay_alu instid0(VALU_DEP_1) | instskip(NEXT) | instid1(VALU_DEP_1)
	v_mul_f32_e32 v12, 0x3fb8aa3b, v11
	v_fma_f32 v13, 0x3fb8aa3b, v11, -v12
	v_rndne_f32_e32 v14, v12
	s_delay_alu instid0(VALU_DEP_1) | instskip(SKIP_1) | instid1(VALU_DEP_2)
	v_dual_sub_f32 v12, v12, v14 :: v_dual_fmac_f32 v13, 0x32a5705f, v11
	v_cmp_ngt_f32_e64 s2, 0xc2ce8ed0, v11
	v_add_f32_e32 v12, v12, v13
	v_cvt_i32_f32_e32 v13, v14
	s_delay_alu instid0(VALU_DEP_2) | instskip(SKIP_2) | instid1(VALU_DEP_1)
	v_exp_f32_e32 v12, v12
	s_waitcnt_depctr 0xfff
	v_ldexp_f32 v12, v12, v13
	v_cndmask_b32_e64 v12, 0, v12, s2
	v_cmp_nlt_f32_e64 s2, 0x42b17218, v11
	s_delay_alu instid0(VALU_DEP_1) | instskip(SKIP_1) | instid1(VALU_DEP_2)
	v_cndmask_b32_e64 v11, 0x7f800000, v12, s2
	v_cmp_le_i32_e64 s2, s3, v10
	v_add_f32_e32 v7, v7, v11
	ds_store_b32 v8, v11
	v_add_nc_u32_e32 v8, 0x80, v8
	s_or_b32 s14, s2, s14
	s_delay_alu instid0(SALU_CYCLE_1)
	s_and_not1_b32 exec_lo, exec_lo, s14
	s_cbranch_execnz .LBB2_6
; %bb.7:
	s_set_inst_prefetch_distance 0x2
	s_or_b32 exec_lo, exec_lo, s14
.LBB2_8:
	s_delay_alu instid0(SALU_CYCLE_1)
	s_or_b32 exec_lo, exec_lo, s9
	ds_bpermute_b32 v1, v1, v7
	s_waitcnt lgkmcnt(0)
	v_add_f32_e32 v1, v7, v1
	ds_bpermute_b32 v2, v2, v1
	s_waitcnt lgkmcnt(0)
	v_add_f32_e32 v1, v1, v2
	;; [unrolled: 3-line block ×4, first 2 shown]
	ds_bpermute_b32 v2, v6, v1
	s_and_saveexec_b32 s2, vcc_lo
	s_cbranch_execz .LBB2_11
; %bb.9:
	s_load_b32 s0, s[0:1], 0x28
	s_load_b32 s2, s[10:11], 0x0
	s_waitcnt lgkmcnt(0)
	v_add_f32_e32 v6, v1, v2
	s_add_i32 s9, s13, s12
	s_delay_alu instid0(SALU_CYCLE_1) | instskip(NEXT) | instid1(VALU_DEP_1)
	s_lshl_b64 s[8:9], s[8:9], 2
	v_div_scale_f32 v1, null, v6, v6, 1.0
	v_add_co_u32 v13, s1, s8, v5
	s_delay_alu instid0(VALU_DEP_1) | instskip(NEXT) | instid1(VALU_DEP_3)
	v_add_co_ci_u32_e64 v14, null, s9, 0, s1
	v_rcp_f32_e32 v3, v1
	v_add_nc_u32_e32 v5, 0, v5
	v_cvt_f32_u32_e32 v7, s0
	s_waitcnt_depctr 0xfff
	v_fma_f32 v2, -v1, v3, 1.0
	v_div_scale_f32 v4, null, v7, v7, s2
	v_div_scale_f32 v10, s0, s2, v7, s2
	s_delay_alu instid0(VALU_DEP_3) | instskip(NEXT) | instid1(VALU_DEP_3)
	v_fmac_f32_e32 v3, v2, v3
	v_rcp_f32_e32 v8, v4
	v_div_scale_f32 v9, vcc_lo, 1.0, v6, 1.0
	s_waitcnt_depctr 0xfff
	v_fma_f32 v2, -v4, v8, 1.0
	s_delay_alu instid0(VALU_DEP_1) | instskip(NEXT) | instid1(VALU_DEP_1)
	v_dual_mul_f32 v11, v9, v3 :: v_dual_fmac_f32 v8, v2, v8
	v_fma_f32 v2, -v1, v11, v9
	s_delay_alu instid0(VALU_DEP_2) | instskip(NEXT) | instid1(VALU_DEP_2)
	v_mul_f32_e32 v12, v10, v8
	v_fmac_f32_e32 v11, v2, v3
	s_delay_alu instid0(VALU_DEP_2) | instskip(NEXT) | instid1(VALU_DEP_2)
	v_fma_f32 v2, -v4, v12, v10
	v_fma_f32 v9, -v1, v11, v9
	v_add_co_u32 v1, s1, s4, v13
	s_delay_alu instid0(VALU_DEP_3) | instskip(NEXT) | instid1(VALU_DEP_3)
	v_fmac_f32_e32 v12, v2, v8
	v_div_fmas_f32 v9, v9, v3, v11
	s_mov_b32 vcc_lo, s0
	v_add_co_ci_u32_e64 v2, s1, s5, v14, s1
	s_delay_alu instid0(VALU_DEP_3) | instskip(NEXT) | instid1(VALU_DEP_3)
	v_fma_f32 v4, -v4, v12, v10
	v_div_fixup_f32 v6, v9, v6, 1.0
	s_mov_b32 s1, 0
	s_delay_alu instid0(VALU_DEP_2) | instskip(SKIP_2) | instid1(VALU_DEP_3)
	v_div_fmas_f32 v8, v4, v8, v12
	v_add_co_u32 v3, vcc_lo, s6, v13
	v_add_co_ci_u32_e32 v4, vcc_lo, s7, v14, vcc_lo
	v_div_fixup_f32 v7, v8, v7, s2
	.p2align	6
.LBB2_10:                               ; =>This Inner Loop Header: Depth=1
	global_load_b32 v8, v[1:2], off
	ds_load_b32 v9, v5
	v_add_nc_u32_e32 v0, 32, v0
	v_add_co_u32 v1, vcc_lo, 0x80, v1
	v_add_co_ci_u32_e32 v2, vcc_lo, 0, v2, vcc_lo
	s_delay_alu instid0(VALU_DEP_3) | instskip(SKIP_3) | instid1(VALU_DEP_1)
	v_cmp_le_i32_e32 vcc_lo, s3, v0
	s_or_b32 s1, vcc_lo, s1
	s_waitcnt vmcnt(0) lgkmcnt(0)
	v_fma_f32 v8, v6, v9, -v8
	v_dual_mul_f32 v8, v7, v8 :: v_dual_add_nc_u32 v5, 0x80, v5
	global_store_b32 v[3:4], v8, off
	v_add_co_u32 v3, s0, 0x80, v3
	s_delay_alu instid0(VALU_DEP_1)
	v_add_co_ci_u32_e64 v4, s0, 0, v4, s0
	s_and_not1_b32 exec_lo, exec_lo, s1
	s_cbranch_execnz .LBB2_10
.LBB2_11:
	s_nop 0
	s_sendmsg sendmsg(MSG_DEALLOC_VGPRS)
	s_endpgm
	.section	.rodata,"a",@progbits
	.p2align	6, 0x0
	.amdhsa_kernel _ZL27cross_entropy_loss_back_f32ILb1EEvPKfS1_S1_Pfi
		.amdhsa_group_segment_fixed_size 0
		.amdhsa_private_segment_fixed_size 0
		.amdhsa_kernarg_size 296
		.amdhsa_user_sgpr_count 15
		.amdhsa_user_sgpr_dispatch_ptr 0
		.amdhsa_user_sgpr_queue_ptr 0
		.amdhsa_user_sgpr_kernarg_segment_ptr 1
		.amdhsa_user_sgpr_dispatch_id 0
		.amdhsa_user_sgpr_private_segment_size 0
		.amdhsa_wavefront_size32 1
		.amdhsa_uses_dynamic_stack 0
		.amdhsa_enable_private_segment 0
		.amdhsa_system_sgpr_workgroup_id_x 1
		.amdhsa_system_sgpr_workgroup_id_y 0
		.amdhsa_system_sgpr_workgroup_id_z 0
		.amdhsa_system_sgpr_workgroup_info 0
		.amdhsa_system_vgpr_workitem_id 0
		.amdhsa_next_free_vgpr 15
		.amdhsa_next_free_sgpr 20
		.amdhsa_reserve_vcc 1
		.amdhsa_float_round_mode_32 0
		.amdhsa_float_round_mode_16_64 0
		.amdhsa_float_denorm_mode_32 3
		.amdhsa_float_denorm_mode_16_64 3
		.amdhsa_dx10_clamp 1
		.amdhsa_ieee_mode 1
		.amdhsa_fp16_overflow 0
		.amdhsa_workgroup_processor_mode 1
		.amdhsa_memory_ordered 1
		.amdhsa_forward_progress 0
		.amdhsa_shared_vgpr_count 0
		.amdhsa_exception_fp_ieee_invalid_op 0
		.amdhsa_exception_fp_denorm_src 0
		.amdhsa_exception_fp_ieee_div_zero 0
		.amdhsa_exception_fp_ieee_overflow 0
		.amdhsa_exception_fp_ieee_underflow 0
		.amdhsa_exception_fp_ieee_inexact 0
		.amdhsa_exception_int_div_zero 0
	.end_amdhsa_kernel
	.section	.text._ZL27cross_entropy_loss_back_f32ILb1EEvPKfS1_S1_Pfi,"axG",@progbits,_ZL27cross_entropy_loss_back_f32ILb1EEvPKfS1_S1_Pfi,comdat
.Lfunc_end2:
	.size	_ZL27cross_entropy_loss_back_f32ILb1EEvPKfS1_S1_Pfi, .Lfunc_end2-_ZL27cross_entropy_loss_back_f32ILb1EEvPKfS1_S1_Pfi
                                        ; -- End function
	.section	.AMDGPU.csdata,"",@progbits
; Kernel info:
; codeLenInByte = 1232
; NumSgprs: 22
; NumVgprs: 15
; ScratchSize: 0
; MemoryBound: 0
; FloatMode: 240
; IeeeMode: 1
; LDSByteSize: 0 bytes/workgroup (compile time only)
; SGPRBlocks: 2
; VGPRBlocks: 1
; NumSGPRsForWavesPerEU: 22
; NumVGPRsForWavesPerEU: 15
; Occupancy: 16
; WaveLimiterHint : 0
; COMPUTE_PGM_RSRC2:SCRATCH_EN: 0
; COMPUTE_PGM_RSRC2:USER_SGPR: 15
; COMPUTE_PGM_RSRC2:TRAP_HANDLER: 0
; COMPUTE_PGM_RSRC2:TGID_X_EN: 1
; COMPUTE_PGM_RSRC2:TGID_Y_EN: 0
; COMPUTE_PGM_RSRC2:TGID_Z_EN: 0
; COMPUTE_PGM_RSRC2:TIDIG_COMP_CNT: 0
	.section	.text._ZL27cross_entropy_loss_back_f32ILb0EEvPKfS1_S1_Pfi,"axG",@progbits,_ZL27cross_entropy_loss_back_f32ILb0EEvPKfS1_S1_Pfi,comdat
	.globl	_ZL27cross_entropy_loss_back_f32ILb0EEvPKfS1_S1_Pfi ; -- Begin function _ZL27cross_entropy_loss_back_f32ILb0EEvPKfS1_S1_Pfi
	.p2align	8
	.type	_ZL27cross_entropy_loss_back_f32ILb0EEvPKfS1_S1_Pfi,@function
_ZL27cross_entropy_loss_back_f32ILb0EEvPKfS1_S1_Pfi: ; @_ZL27cross_entropy_loss_back_f32ILb0EEvPKfS1_S1_Pfi
; %bb.0:
	s_clause 0x1
	s_load_b32 s14, s[0:1], 0x20
	s_load_b256 s[4:11], s[0:1], 0x0
	v_mov_b32_e32 v3, 0xff800000
	v_lshlrev_b32_e32 v5, 2, v0
	s_mov_b32 s18, 0
	s_waitcnt lgkmcnt(0)
	v_cmp_gt_i32_e32 vcc_lo, s14, v0
	s_ashr_i32 s2, s14, 31
	s_mul_hi_u32 s17, s14, s15
	s_mul_i32 s16, s2, s15
	s_mul_i32 s12, s14, s15
	s_and_saveexec_b32 s15, vcc_lo
	s_cbranch_execz .LBB3_4
; %bb.1:
	s_add_i32 s13, s17, s16
	v_dual_mov_b32 v3, 0xff800000 :: v_dual_mov_b32 v4, v0
	s_lshl_b64 s[2:3], s[12:13], 2
	s_delay_alu instid0(SALU_CYCLE_1) | instskip(SKIP_2) | instid1(VALU_DEP_1)
	s_add_u32 s2, s6, s2
	s_addc_u32 s3, s7, s3
	v_add_co_u32 v1, s2, s2, v5
	v_add_co_ci_u32_e64 v2, null, s3, 0, s2
.LBB3_2:                                ; =>This Inner Loop Header: Depth=1
	global_load_b32 v6, v[1:2], off
	v_dual_max_f32 v3, v3, v3 :: v_dual_add_nc_u32 v4, 32, v4
	v_add_co_u32 v1, s2, 0x80, v1
	s_delay_alu instid0(VALU_DEP_1) | instskip(NEXT) | instid1(VALU_DEP_3)
	v_add_co_ci_u32_e64 v2, s2, 0, v2, s2
	v_cmp_le_i32_e64 s3, s14, v4
	s_delay_alu instid0(VALU_DEP_1) | instskip(SKIP_2) | instid1(VALU_DEP_1)
	s_or_b32 s18, s3, s18
	s_waitcnt vmcnt(0)
	v_max_f32_e32 v6, v6, v6
	v_max_f32_e32 v3, v3, v6
	s_and_not1_b32 exec_lo, exec_lo, s18
	s_cbranch_execnz .LBB3_2
; %bb.3:
	s_or_b32 exec_lo, exec_lo, s18
.LBB3_4:
	s_delay_alu instid0(SALU_CYCLE_1) | instskip(SKIP_3) | instid1(VALU_DEP_2)
	s_or_b32 exec_lo, exec_lo, s15
	v_mbcnt_lo_u32_b32 v1, -1, 0
	s_mov_b32 s18, 0
	v_mov_b32_e32 v11, 0
	v_xor_b32_e32 v2, 16, v1
	v_xor_b32_e32 v4, 8, v1
	s_delay_alu instid0(VALU_DEP_2) | instskip(NEXT) | instid1(VALU_DEP_1)
	v_cmp_gt_i32_e64 s2, 32, v2
	v_cndmask_b32_e64 v2, v1, v2, s2
	s_delay_alu instid0(VALU_DEP_3) | instskip(NEXT) | instid1(VALU_DEP_2)
	v_cmp_gt_i32_e64 s2, 32, v4
	v_lshlrev_b32_e32 v6, 2, v2
	s_delay_alu instid0(VALU_DEP_2) | instskip(SKIP_4) | instid1(VALU_DEP_1)
	v_cndmask_b32_e64 v4, v1, v4, s2
	ds_bpermute_b32 v2, v6, v3
	v_max_f32_e32 v3, v3, v3
	v_lshlrev_b32_e32 v7, 2, v4
	v_xor_b32_e32 v4, 4, v1
	v_cmp_gt_i32_e64 s2, 32, v4
	s_delay_alu instid0(VALU_DEP_1) | instskip(NEXT) | instid1(VALU_DEP_1)
	v_cndmask_b32_e64 v4, v1, v4, s2
	v_lshlrev_b32_e32 v8, 2, v4
	v_xor_b32_e32 v4, 2, v1
	s_waitcnt lgkmcnt(0)
	v_max_f32_e32 v2, v2, v2
	s_delay_alu instid0(VALU_DEP_2) | instskip(NEXT) | instid1(VALU_DEP_1)
	v_cmp_gt_i32_e64 s2, 32, v4
	v_cndmask_b32_e64 v4, v1, v4, s2
	s_delay_alu instid0(VALU_DEP_1) | instskip(SKIP_2) | instid1(VALU_DEP_1)
	v_dual_max_f32 v2, v3, v2 :: v_dual_lshlrev_b32 v9, 2, v4
	ds_bpermute_b32 v3, v7, v2
	v_xor_b32_e32 v4, 1, v1
	v_cmp_gt_i32_e64 s2, 32, v4
	s_delay_alu instid0(VALU_DEP_1) | instskip(SKIP_1) | instid1(VALU_DEP_1)
	v_cndmask_b32_e64 v4, v1, v4, s2
	s_waitcnt lgkmcnt(0)
	v_dual_max_f32 v3, v3, v3 :: v_dual_lshlrev_b32 v10, 2, v4
	s_delay_alu instid0(VALU_DEP_1) | instskip(SKIP_3) | instid1(VALU_DEP_1)
	v_max_f32_e32 v2, v2, v3
	ds_bpermute_b32 v3, v8, v2
	s_waitcnt lgkmcnt(0)
	v_max_f32_e32 v3, v3, v3
	v_max_f32_e32 v2, v2, v3
	ds_bpermute_b32 v3, v9, v2
	s_waitcnt lgkmcnt(0)
	v_max_f32_e32 v3, v3, v3
	s_delay_alu instid0(VALU_DEP_1)
	v_max_f32_e32 v1, v2, v3
	ds_bpermute_b32 v2, v10, v1
	s_and_saveexec_b32 s15, vcc_lo
	s_cbranch_execz .LBB3_8
; %bb.5:
	s_add_i32 s13, s17, s16
	s_waitcnt lgkmcnt(0)
	v_dual_max_f32 v2, v2, v2 :: v_dual_max_f32 v1, v1, v1
	s_lshl_b64 s[2:3], s[12:13], 2
	v_mov_b32_e32 v13, v0
	v_add_co_u32 v3, s2, s2, v5
	s_delay_alu instid0(VALU_DEP_1) | instskip(SKIP_1) | instid1(VALU_DEP_3)
	v_add_co_ci_u32_e64 v4, null, s3, 0, s2
	v_dual_max_f32 v12, v1, v2 :: v_dual_mov_b32 v11, 0
	v_add_co_u32 v1, s2, s6, v3
	s_delay_alu instid0(VALU_DEP_1) | instskip(SKIP_1) | instid1(VALU_DEP_1)
	v_add_co_ci_u32_e64 v2, s2, s7, v4, s2
	v_add_co_u32 v3, s2, s10, v3
	v_add_co_ci_u32_e64 v4, s2, s11, v4, s2
	s_set_inst_prefetch_distance 0x1
	.p2align	6
.LBB3_6:                                ; =>This Inner Loop Header: Depth=1
	global_load_b32 v14, v[1:2], off
	v_add_nc_u32_e32 v13, 32, v13
	v_add_co_u32 v1, s2, 0x80, v1
	s_delay_alu instid0(VALU_DEP_1) | instskip(SKIP_3) | instid1(VALU_DEP_2)
	v_add_co_ci_u32_e64 v2, s2, 0, v2, s2
	s_waitcnt vmcnt(0)
	v_sub_f32_e32 v14, v14, v12
	v_cmp_le_i32_e64 s2, s14, v13
	v_mul_f32_e32 v15, 0x3fb8aa3b, v14
	v_cmp_ngt_f32_e64 s3, 0xc2ce8ed0, v14
	s_delay_alu instid0(VALU_DEP_3) | instskip(NEXT) | instid1(VALU_DEP_2)
	s_or_b32 s18, s2, s18
	v_fma_f32 v16, 0x3fb8aa3b, v14, -v15
	v_rndne_f32_e32 v17, v15
	s_delay_alu instid0(VALU_DEP_1) | instskip(NEXT) | instid1(VALU_DEP_1)
	v_dual_fmac_f32 v16, 0x32a5705f, v14 :: v_dual_sub_f32 v15, v15, v17
	v_add_f32_e32 v15, v15, v16
	v_cvt_i32_f32_e32 v16, v17
	s_delay_alu instid0(VALU_DEP_2) | instskip(SKIP_2) | instid1(VALU_DEP_1)
	v_exp_f32_e32 v15, v15
	s_waitcnt_depctr 0xfff
	v_ldexp_f32 v15, v15, v16
	v_cndmask_b32_e64 v15, 0, v15, s3
	v_cmp_nlt_f32_e64 s3, 0x42b17218, v14
	s_delay_alu instid0(VALU_DEP_1)
	v_cndmask_b32_e64 v14, 0x7f800000, v15, s3
	global_store_b32 v[3:4], v14, off
	v_add_co_u32 v3, s3, 0x80, v3
	v_add_f32_e32 v11, v11, v14
	v_add_co_ci_u32_e64 v4, s3, 0, v4, s3
	s_and_not1_b32 exec_lo, exec_lo, s18
	s_cbranch_execnz .LBB3_6
; %bb.7:
	s_set_inst_prefetch_distance 0x2
	s_or_b32 exec_lo, exec_lo, s18
.LBB3_8:
	s_delay_alu instid0(SALU_CYCLE_1)
	s_or_b32 exec_lo, exec_lo, s15
	ds_bpermute_b32 v1, v6, v11
	s_waitcnt lgkmcnt(0)
	v_add_f32_e32 v1, v11, v1
	ds_bpermute_b32 v2, v7, v1
	s_waitcnt lgkmcnt(0)
	v_add_f32_e32 v1, v1, v2
	;; [unrolled: 3-line block ×4, first 2 shown]
	ds_bpermute_b32 v2, v10, v1
	s_and_saveexec_b32 s2, vcc_lo
	s_cbranch_execz .LBB3_11
; %bb.9:
	s_load_b32 s0, s[0:1], 0x28
	s_load_b32 s1, s[4:5], 0x0
	s_add_i32 s13, s17, s16
	s_delay_alu instid0(SALU_CYCLE_1) | instskip(SKIP_2) | instid1(VALU_DEP_1)
	s_lshl_b64 s[2:3], s[12:13], 2
	s_waitcnt lgkmcnt(0)
	v_cvt_f32_u32_e32 v4, s0
	v_div_scale_f32 v10, s0, s1, v4, s1
	v_add_f32_e32 v3, v1, v2
	v_div_scale_f32 v6, null, v4, v4, s1
	s_delay_alu instid0(VALU_DEP_2) | instskip(NEXT) | instid1(VALU_DEP_2)
	v_div_scale_f32 v1, null, v3, v3, 1.0
	v_rcp_f32_e32 v7, v6
	s_delay_alu instid0(VALU_DEP_1) | instskip(SKIP_2) | instid1(VALU_DEP_1)
	v_rcp_f32_e32 v2, v1
	s_waitcnt_depctr 0xfff
	v_fma_f32 v8, -v1, v2, 1.0
	v_fmac_f32_e32 v2, v8, v2
	v_fma_f32 v8, -v6, v7, 1.0
	s_delay_alu instid0(VALU_DEP_1) | instskip(NEXT) | instid1(VALU_DEP_1)
	v_fmac_f32_e32 v7, v8, v7
	v_mul_f32_e32 v12, v10, v7
	v_div_scale_f32 v9, vcc_lo, 1.0, v3, 1.0
	s_delay_alu instid0(VALU_DEP_1) | instskip(NEXT) | instid1(VALU_DEP_1)
	v_mul_f32_e32 v11, v9, v2
	v_fma_f32 v8, -v1, v11, v9
	s_delay_alu instid0(VALU_DEP_1) | instskip(SKIP_1) | instid1(VALU_DEP_2)
	v_fmac_f32_e32 v11, v8, v2
	v_fma_f32 v8, -v6, v12, v10
	v_fma_f32 v1, -v1, v11, v9
	s_delay_alu instid0(VALU_DEP_2) | instskip(SKIP_1) | instid1(VALU_DEP_1)
	v_fmac_f32_e32 v12, v8, v7
	v_add_co_u32 v8, s2, s2, v5
	v_add_co_ci_u32_e64 v9, null, s3, 0, s2
	s_delay_alu instid0(VALU_DEP_3) | instskip(SKIP_2) | instid1(VALU_DEP_2)
	v_fma_f32 v5, -v6, v12, v10
	v_div_fmas_f32 v6, v1, v2, v11
	s_mov_b32 vcc_lo, s0
	v_div_fmas_f32 v7, v5, v7, v12
	v_add_co_u32 v1, vcc_lo, s10, v8
	v_add_co_ci_u32_e32 v2, vcc_lo, s11, v9, vcc_lo
	v_div_fixup_f32 v5, v6, v3, 1.0
	v_add_co_u32 v3, vcc_lo, s8, v8
	v_div_fixup_f32 v6, v7, v4, s1
	v_add_co_ci_u32_e32 v4, vcc_lo, s9, v9, vcc_lo
	s_mov_b32 s1, 0
	.p2align	6
.LBB3_10:                               ; =>This Inner Loop Header: Depth=1
	global_load_b32 v7, v[1:2], off
	global_load_b32 v8, v[3:4], off
	s_waitcnt vmcnt(0)
	v_fma_f32 v7, v5, v7, -v8
	s_delay_alu instid0(VALU_DEP_1) | instskip(NEXT) | instid1(VALU_DEP_1)
	v_dual_mul_f32 v7, v6, v7 :: v_dual_add_nc_u32 v0, 32, v0
	v_cmp_le_i32_e32 vcc_lo, s14, v0
	global_store_b32 v[1:2], v7, off
	v_add_co_u32 v1, s0, 0x80, v1
	s_delay_alu instid0(VALU_DEP_1) | instskip(SKIP_1) | instid1(VALU_DEP_1)
	v_add_co_ci_u32_e64 v2, s0, 0, v2, s0
	v_add_co_u32 v3, s0, 0x80, v3
	v_add_co_ci_u32_e64 v4, s0, 0, v4, s0
	s_or_b32 s1, vcc_lo, s1
	s_delay_alu instid0(SALU_CYCLE_1)
	s_and_not1_b32 exec_lo, exec_lo, s1
	s_cbranch_execnz .LBB3_10
.LBB3_11:
	s_nop 0
	s_sendmsg sendmsg(MSG_DEALLOC_VGPRS)
	s_endpgm
	.section	.rodata,"a",@progbits
	.p2align	6, 0x0
	.amdhsa_kernel _ZL27cross_entropy_loss_back_f32ILb0EEvPKfS1_S1_Pfi
		.amdhsa_group_segment_fixed_size 0
		.amdhsa_private_segment_fixed_size 0
		.amdhsa_kernarg_size 296
		.amdhsa_user_sgpr_count 15
		.amdhsa_user_sgpr_dispatch_ptr 0
		.amdhsa_user_sgpr_queue_ptr 0
		.amdhsa_user_sgpr_kernarg_segment_ptr 1
		.amdhsa_user_sgpr_dispatch_id 0
		.amdhsa_user_sgpr_private_segment_size 0
		.amdhsa_wavefront_size32 1
		.amdhsa_uses_dynamic_stack 0
		.amdhsa_enable_private_segment 0
		.amdhsa_system_sgpr_workgroup_id_x 1
		.amdhsa_system_sgpr_workgroup_id_y 0
		.amdhsa_system_sgpr_workgroup_id_z 0
		.amdhsa_system_sgpr_workgroup_info 0
		.amdhsa_system_vgpr_workitem_id 0
		.amdhsa_next_free_vgpr 18
		.amdhsa_next_free_sgpr 19
		.amdhsa_reserve_vcc 1
		.amdhsa_float_round_mode_32 0
		.amdhsa_float_round_mode_16_64 0
		.amdhsa_float_denorm_mode_32 3
		.amdhsa_float_denorm_mode_16_64 3
		.amdhsa_dx10_clamp 1
		.amdhsa_ieee_mode 1
		.amdhsa_fp16_overflow 0
		.amdhsa_workgroup_processor_mode 1
		.amdhsa_memory_ordered 1
		.amdhsa_forward_progress 0
		.amdhsa_shared_vgpr_count 0
		.amdhsa_exception_fp_ieee_invalid_op 0
		.amdhsa_exception_fp_denorm_src 0
		.amdhsa_exception_fp_ieee_div_zero 0
		.amdhsa_exception_fp_ieee_overflow 0
		.amdhsa_exception_fp_ieee_underflow 0
		.amdhsa_exception_fp_ieee_inexact 0
		.amdhsa_exception_int_div_zero 0
	.end_amdhsa_kernel
	.section	.text._ZL27cross_entropy_loss_back_f32ILb0EEvPKfS1_S1_Pfi,"axG",@progbits,_ZL27cross_entropy_loss_back_f32ILb0EEvPKfS1_S1_Pfi,comdat
.Lfunc_end3:
	.size	_ZL27cross_entropy_loss_back_f32ILb0EEvPKfS1_S1_Pfi, .Lfunc_end3-_ZL27cross_entropy_loss_back_f32ILb0EEvPKfS1_S1_Pfi
                                        ; -- End function
	.section	.AMDGPU.csdata,"",@progbits
; Kernel info:
; codeLenInByte = 1268
; NumSgprs: 21
; NumVgprs: 18
; ScratchSize: 0
; MemoryBound: 0
; FloatMode: 240
; IeeeMode: 1
; LDSByteSize: 0 bytes/workgroup (compile time only)
; SGPRBlocks: 2
; VGPRBlocks: 2
; NumSGPRsForWavesPerEU: 21
; NumVGPRsForWavesPerEU: 18
; Occupancy: 16
; WaveLimiterHint : 0
; COMPUTE_PGM_RSRC2:SCRATCH_EN: 0
; COMPUTE_PGM_RSRC2:USER_SGPR: 15
; COMPUTE_PGM_RSRC2:TRAP_HANDLER: 0
; COMPUTE_PGM_RSRC2:TGID_X_EN: 1
; COMPUTE_PGM_RSRC2:TGID_Y_EN: 0
; COMPUTE_PGM_RSRC2:TGID_Z_EN: 0
; COMPUTE_PGM_RSRC2:TIDIG_COMP_CNT: 0
	.text
	.p2alignl 7, 3214868480
	.fill 96, 4, 3214868480
	.type	__hip_cuid_c858d079f248b16,@object ; @__hip_cuid_c858d079f248b16
	.section	.bss,"aw",@nobits
	.globl	__hip_cuid_c858d079f248b16
__hip_cuid_c858d079f248b16:
	.byte	0                               ; 0x0
	.size	__hip_cuid_c858d079f248b16, 1

	.ident	"AMD clang version 19.0.0git (https://github.com/RadeonOpenCompute/llvm-project roc-6.4.0 25133 c7fe45cf4b819c5991fe208aaa96edf142730f1d)"
	.section	".note.GNU-stack","",@progbits
	.addrsig
	.addrsig_sym __hip_cuid_c858d079f248b16
	.amdgpu_metadata
---
amdhsa.kernels:
  - .args:
      - .actual_access:  read_only
        .address_space:  global
        .offset:         0
        .size:           8
        .value_kind:     global_buffer
      - .actual_access:  read_only
        .address_space:  global
        .offset:         8
        .size:           8
        .value_kind:     global_buffer
      - .actual_access:  write_only
        .address_space:  global
        .offset:         16
        .size:           8
        .value_kind:     global_buffer
      - .offset:         24
        .size:           4
        .value_kind:     by_value
      - .offset:         28
        .size:           4
        .value_kind:     by_value
    .group_segment_fixed_size: 0
    .kernarg_segment_align: 8
    .kernarg_segment_size: 32
    .language:       OpenCL C
    .language_version:
      - 2
      - 0
    .max_flat_workgroup_size: 1024
    .name:           _ZL22cross_entropy_loss_f32ILb1EEvPKfS1_Pfii
    .private_segment_fixed_size: 0
    .sgpr_count:     20
    .sgpr_spill_count: 0
    .symbol:         _ZL22cross_entropy_loss_f32ILb1EEvPKfS1_Pfii.kd
    .uniform_work_group_size: 1
    .uses_dynamic_stack: false
    .vgpr_count:     15
    .vgpr_spill_count: 0
    .wavefront_size: 32
    .workgroup_processor_mode: 1
  - .args:
      - .actual_access:  read_only
        .address_space:  global
        .offset:         0
        .size:           8
        .value_kind:     global_buffer
      - .actual_access:  read_only
        .address_space:  global
        .offset:         8
        .size:           8
        .value_kind:     global_buffer
      - .actual_access:  write_only
        .address_space:  global
        .offset:         16
        .size:           8
        .value_kind:     global_buffer
      - .offset:         24
        .size:           4
        .value_kind:     by_value
      - .offset:         28
        .size:           4
        .value_kind:     by_value
    .group_segment_fixed_size: 0
    .kernarg_segment_align: 8
    .kernarg_segment_size: 32
    .language:       OpenCL C
    .language_version:
      - 2
      - 0
    .max_flat_workgroup_size: 1024
    .name:           _ZL22cross_entropy_loss_f32ILb0EEvPKfS1_Pfii
    .private_segment_fixed_size: 0
    .sgpr_count:     20
    .sgpr_spill_count: 0
    .symbol:         _ZL22cross_entropy_loss_f32ILb0EEvPKfS1_Pfii.kd
    .uniform_work_group_size: 1
    .uses_dynamic_stack: false
    .vgpr_count:     16
    .vgpr_spill_count: 0
    .wavefront_size: 32
    .workgroup_processor_mode: 1
  - .args:
      - .actual_access:  read_only
        .address_space:  global
        .offset:         0
        .size:           8
        .value_kind:     global_buffer
      - .actual_access:  read_only
        .address_space:  global
        .offset:         8
        .size:           8
        .value_kind:     global_buffer
      - .actual_access:  read_only
        .address_space:  global
        .offset:         16
        .size:           8
        .value_kind:     global_buffer
      - .actual_access:  write_only
        .address_space:  global
        .offset:         24
        .size:           8
        .value_kind:     global_buffer
      - .offset:         32
        .size:           4
        .value_kind:     by_value
      - .offset:         40
        .size:           4
        .value_kind:     hidden_block_count_x
      - .offset:         44
        .size:           4
        .value_kind:     hidden_block_count_y
      - .offset:         48
        .size:           4
        .value_kind:     hidden_block_count_z
      - .offset:         52
        .size:           2
        .value_kind:     hidden_group_size_x
      - .offset:         54
        .size:           2
        .value_kind:     hidden_group_size_y
      - .offset:         56
        .size:           2
        .value_kind:     hidden_group_size_z
      - .offset:         58
        .size:           2
        .value_kind:     hidden_remainder_x
      - .offset:         60
        .size:           2
        .value_kind:     hidden_remainder_y
      - .offset:         62
        .size:           2
        .value_kind:     hidden_remainder_z
      - .offset:         80
        .size:           8
        .value_kind:     hidden_global_offset_x
      - .offset:         88
        .size:           8
        .value_kind:     hidden_global_offset_y
      - .offset:         96
        .size:           8
        .value_kind:     hidden_global_offset_z
      - .offset:         104
        .size:           2
        .value_kind:     hidden_grid_dims
      - .offset:         160
        .size:           4
        .value_kind:     hidden_dynamic_lds_size
    .group_segment_fixed_size: 0
    .kernarg_segment_align: 8
    .kernarg_segment_size: 296
    .language:       OpenCL C
    .language_version:
      - 2
      - 0
    .max_flat_workgroup_size: 1024
    .name:           _ZL27cross_entropy_loss_back_f32ILb1EEvPKfS1_S1_Pfi
    .private_segment_fixed_size: 0
    .sgpr_count:     22
    .sgpr_spill_count: 0
    .symbol:         _ZL27cross_entropy_loss_back_f32ILb1EEvPKfS1_S1_Pfi.kd
    .uniform_work_group_size: 1
    .uses_dynamic_stack: false
    .vgpr_count:     15
    .vgpr_spill_count: 0
    .wavefront_size: 32
    .workgroup_processor_mode: 1
  - .args:
      - .actual_access:  read_only
        .address_space:  global
        .offset:         0
        .size:           8
        .value_kind:     global_buffer
      - .actual_access:  read_only
        .address_space:  global
        .offset:         8
        .size:           8
        .value_kind:     global_buffer
      - .actual_access:  read_only
        .address_space:  global
        .offset:         16
        .size:           8
        .value_kind:     global_buffer
      - .address_space:  global
        .offset:         24
        .size:           8
        .value_kind:     global_buffer
      - .offset:         32
        .size:           4
        .value_kind:     by_value
      - .offset:         40
        .size:           4
        .value_kind:     hidden_block_count_x
      - .offset:         44
        .size:           4
        .value_kind:     hidden_block_count_y
      - .offset:         48
        .size:           4
        .value_kind:     hidden_block_count_z
      - .offset:         52
        .size:           2
        .value_kind:     hidden_group_size_x
      - .offset:         54
        .size:           2
        .value_kind:     hidden_group_size_y
      - .offset:         56
        .size:           2
        .value_kind:     hidden_group_size_z
      - .offset:         58
        .size:           2
        .value_kind:     hidden_remainder_x
      - .offset:         60
        .size:           2
        .value_kind:     hidden_remainder_y
      - .offset:         62
        .size:           2
        .value_kind:     hidden_remainder_z
      - .offset:         80
        .size:           8
        .value_kind:     hidden_global_offset_x
      - .offset:         88
        .size:           8
        .value_kind:     hidden_global_offset_y
      - .offset:         96
        .size:           8
        .value_kind:     hidden_global_offset_z
      - .offset:         104
        .size:           2
        .value_kind:     hidden_grid_dims
    .group_segment_fixed_size: 0
    .kernarg_segment_align: 8
    .kernarg_segment_size: 296
    .language:       OpenCL C
    .language_version:
      - 2
      - 0
    .max_flat_workgroup_size: 1024
    .name:           _ZL27cross_entropy_loss_back_f32ILb0EEvPKfS1_S1_Pfi
    .private_segment_fixed_size: 0
    .sgpr_count:     21
    .sgpr_spill_count: 0
    .symbol:         _ZL27cross_entropy_loss_back_f32ILb0EEvPKfS1_S1_Pfi.kd
    .uniform_work_group_size: 1
    .uses_dynamic_stack: false
    .vgpr_count:     18
    .vgpr_spill_count: 0
    .wavefront_size: 32
    .workgroup_processor_mode: 1
amdhsa.target:   amdgcn-amd-amdhsa--gfx1100
amdhsa.version:
  - 1
  - 2
...

	.end_amdgpu_metadata
